;; amdgpu-corpus repo=zjin-lcf/HeCBench kind=compiled arch=gfx1250 opt=O3
	.amdgcn_target "amdgcn-amd-amdhsa--gfx1250"
	.amdhsa_code_object_version 6
	.text
	.protected	_Z5QRdeliPKfS0_S0_S0_PfS1_S1_S1_S1_S1_S1_S1_ ; -- Begin function _Z5QRdeliPKfS0_S0_S0_PfS1_S1_S1_S1_S1_S1_S1_
	.globl	_Z5QRdeliPKfS0_S0_S0_PfS1_S1_S1_S1_S1_S1_S1_
	.p2align	8
	.type	_Z5QRdeliPKfS0_S0_S0_PfS1_S1_S1_S1_S1_S1_S1_,@function
_Z5QRdeliPKfS0_S0_S0_PfS1_S1_S1_S1_S1_S1_S1_: ; @_Z5QRdeliPKfS0_S0_S0_PfS1_S1_S1_S1_S1_S1_S1_
; %bb.0:
	s_clause 0x1
	s_load_b32 s2, s[0:1], 0x74
	s_load_b32 s3, s[0:1], 0x0
	s_bfe_u32 s4, ttmp6, 0x4000c
	s_and_b32 s5, ttmp6, 15
	s_add_co_i32 s4, s4, 1
	s_getreg_b32 s6, hwreg(HW_REG_IB_STS2, 6, 4)
	s_mul_i32 s4, ttmp9, s4
	s_delay_alu instid0(SALU_CYCLE_1) | instskip(SKIP_4) | instid1(SALU_CYCLE_1)
	s_add_co_i32 s5, s5, s4
	s_wait_kmcnt 0x0
	s_and_b32 s2, s2, 0xffff
	s_cmp_eq_u32 s6, 0
	s_cselect_b32 s4, ttmp9, s5
	v_mad_u32 v4, s4, s2, v0
	s_mov_b32 s2, exec_lo
	s_delay_alu instid0(VALU_DEP_1)
	v_cmpx_gt_i32_e64 s3, v4
	s_cbranch_execz .LBB0_2
; %bb.1:
	s_clause 0x1
	s_load_b256 s[4:11], s[0:1], 0x8
	s_load_b256 s[12:19], s[0:1], 0x28
	s_wait_kmcnt 0x0
	s_clause 0x3
	global_load_b32 v0, v4, s[6:7] scale_offset
	global_load_b32 v5, v4, s[4:5] scale_offset
	;; [unrolled: 1-line block ×4, first 2 shown]
	s_wait_loadcnt 0x2
	v_div_scale_f32 v1, null, v5, v5, v0
	s_wait_loadcnt 0x1
	v_div_scale_f32 v6, null, v5, v5, v3
	v_div_scale_f32 v10, vcc_lo, v0, v5, v0
	s_delay_alu instid0(VALU_DEP_3) | instskip(NEXT) | instid1(VALU_DEP_2)
	v_rcp_f32_e32 v2, v1
	v_rcp_f32_e32 v9, v6
	v_div_scale_f32 v12, s2, v3, v5, v3
	s_delay_alu instid0(TRANS32_DEP_2) | instskip(NEXT) | instid1(VALU_DEP_1)
	v_fma_f32 v7, -v1, v2, 1.0
	v_fmac_f32_e32 v2, v7, v2
	s_delay_alu instid0(TRANS32_DEP_1) | instskip(NEXT) | instid1(VALU_DEP_1)
	v_fma_f32 v7, -v6, v9, 1.0
	v_dual_fmac_f32 v9, v7, v9 :: v_dual_mul_f32 v11, v10, v2
	s_delay_alu instid0(VALU_DEP_1) | instskip(NEXT) | instid1(VALU_DEP_1)
	v_dual_mul_f32 v13, v12, v9 :: v_dual_fma_f32 v7, -v1, v11, v10
	v_dual_fmac_f32 v11, v7, v2 :: v_dual_fma_f32 v7, -v6, v13, v12
	s_delay_alu instid0(VALU_DEP_1) | instskip(SKIP_2) | instid1(VALU_DEP_2)
	v_dual_fma_f32 v1, -v1, v11, v10 :: v_dual_fmac_f32 v13, v7, v9
	s_wait_loadcnt 0x0
	v_div_scale_f32 v10, null, v5, v5, v8
	v_div_fmas_f32 v1, v1, v2, v11
	s_mov_b32 vcc_lo, s2
	s_delay_alu instid0(VALU_DEP_1) | instskip(NEXT) | instid1(VALU_DEP_1)
	v_div_fixup_f32 v0, v1, v5, v0
	v_mul_f32_e32 v1, 0x3f400000, v0
	v_fma_f32 v2, -v6, v13, v12
	s_delay_alu instid0(VALU_DEP_1) | instskip(SKIP_3) | instid1(VALU_DEP_3)
	v_div_fmas_f32 v6, v2, v9, v13
	v_rcp_f32_e32 v9, v10
	v_mov_b32_e32 v2, 0.5
	v_div_scale_f32 v11, vcc_lo, v8, v5, v8
	v_div_fixup_f32 v0, v6, v5, v3
	v_mov_b32_e32 v3, v1
	s_delay_alu instid0(TRANS32_DEP_1) | instskip(NEXT) | instid1(VALU_DEP_2)
	v_fma_f32 v6, -v10, v9, 1.0
	v_pk_mul_f32 v[2:3], v[0:1], v[2:3]
	s_delay_alu instid0(VALU_DEP_2) | instskip(NEXT) | instid1(VALU_DEP_2)
	v_dual_mov_b32 v0, v1 :: v_dual_fmac_f32 v9, v6, v9
	v_div_scale_f32 v12, null, 0xc1100000, 0xc1100000, v3
	s_delay_alu instid0(VALU_DEP_3) | instskip(NEXT) | instid1(VALU_DEP_3)
	v_div_scale_f32 v13, null, 0x40400000, 0x40400000, v2
	v_pk_mul_f32 v[6:7], v[0:1], v[2:3] op_sel_hi:[0,1]
	s_delay_alu instid0(VALU_DEP_3) | instskip(SKIP_1) | instid1(VALU_DEP_3)
	v_rcp_f32_e32 v14, v12
	v_mul_f32_e32 v0, v11, v9
	v_rcp_f32_e32 v15, v13
	v_div_scale_f32 v19, s2, v3, 0xc1100000, v3
	v_div_scale_f32 v16, null, 0xc1d80000, 0xc1d80000, v7
	v_div_scale_f32 v17, null, 0x40c00000, 0x40c00000, v6
	s_delay_alu instid0(TRANS32_DEP_2) | instskip(NEXT) | instid1(VALU_DEP_3)
	v_fma_f32 v22, -v12, v14, 1.0
	v_rcp_f32_e32 v20, v16
	s_delay_alu instid0(TRANS32_DEP_2) | instskip(NEXT) | instid1(VALU_DEP_3)
	v_fma_f32 v23, -v13, v15, 1.0
	v_rcp_f32_e32 v21, v17
	v_div_scale_f32 v24, s3, v2, 0x40400000, v2
	s_delay_alu instid0(VALU_DEP_2) | instskip(SKIP_1) | instid1(TRANS32_DEP_2)
	v_dual_fmac_f32 v14, v22, v14 :: v_dual_fmac_f32 v15, v23, v15
	v_fma_f32 v18, -v10, v0, v11
	v_fma_f32 v22, -v16, v20, 1.0
	s_delay_alu instid0(TRANS32_DEP_1) | instskip(SKIP_2) | instid1(VALU_DEP_4)
	v_fma_f32 v23, -v17, v21, 1.0
	v_div_scale_f32 v25, s4, v7, 0xc1d80000, v7
	v_dual_mul_f32 v27, v19, v14 :: v_dual_mul_f32 v28, v24, v15
	v_fmac_f32_e32 v20, v22, v20
	v_fmac_f32_e32 v0, v18, v9
	v_div_scale_f32 v26, s5, v6, 0x40c00000, v6
	s_delay_alu instid0(VALU_DEP_4) | instskip(NEXT) | instid1(VALU_DEP_4)
	v_dual_fmac_f32 v21, v23, v21 :: v_dual_fma_f32 v18, -v12, v27, v19
	v_mul_f32_e32 v23, v25, v20
	s_delay_alu instid0(VALU_DEP_4) | instskip(NEXT) | instid1(VALU_DEP_3)
	v_fma_f32 v10, -v10, v0, v11
	v_dual_fma_f32 v22, -v13, v28, v24 :: v_dual_mul_f32 v29, v26, v21
	s_delay_alu instid0(VALU_DEP_3) | instskip(NEXT) | instid1(VALU_DEP_3)
	v_dual_fmac_f32 v27, v18, v14 :: v_dual_fma_f32 v11, -v16, v23, v25
	v_div_fmas_f32 v0, v10, v9, v0
	s_delay_alu instid0(VALU_DEP_3) | instskip(SKIP_1) | instid1(VALU_DEP_3)
	v_dual_fmac_f32 v28, v22, v15 :: v_dual_fma_f32 v18, -v17, v29, v26
	s_mov_b32 vcc_lo, s2
	v_fmac_f32_e32 v23, v11, v20
	s_delay_alu instid0(VALU_DEP_3) | instskip(NEXT) | instid1(VALU_DEP_3)
	v_div_fixup_f32 v0, v0, v5, v8
	v_dual_fma_f32 v9, -v12, v27, v19 :: v_dual_fma_f32 v10, -v13, v28, v24
	s_delay_alu instid0(VALU_DEP_2) | instskip(NEXT) | instid1(VALU_DEP_4)
	v_dual_fmac_f32 v29, v18, v21 :: v_dual_mul_f32 v0, 0x3e800000, v0
	v_fma_f32 v11, -v16, v23, v25
	s_delay_alu instid0(VALU_DEP_3) | instskip(SKIP_1) | instid1(VALU_DEP_3)
	v_div_fmas_f32 v9, v9, v14, v27
	s_mov_b32 vcc_lo, s3
	v_fma_f32 v12, -v17, v29, v26
	v_div_fmas_f32 v10, v10, v15, v28
	s_mov_b32 vcc_lo, s4
	v_div_fixup_f32 v3, v9, 0xc1100000, v3
	v_div_fmas_f32 v11, v11, v20, v23
	s_mov_b32 vcc_lo, s5
	s_load_b256 s[4:11], s[0:1], 0x48
	v_div_fmas_f32 v12, v12, v21, v29
	s_delay_alu instid0(VALU_DEP_2) | instskip(SKIP_1) | instid1(VALU_DEP_3)
	v_div_fixup_f32 v5, v11, 0xc1d80000, v7
	v_div_fixup_f32 v7, v10, 0x40400000, v2
	;; [unrolled: 1-line block ×3, first 2 shown]
	s_delay_alu instid0(VALU_DEP_1) | instskip(NEXT) | instid1(VALU_DEP_1)
	v_dual_add_f32 v3, v7, v3 :: v_dual_add_f32 v5, v6, v5
	v_mul_f32_e32 v3, 0x47c35000, v3
	s_delay_alu instid0(VALU_DEP_1) | instskip(NEXT) | instid1(VALU_DEP_1)
	v_trunc_f32_e32 v6, v3
	v_dual_fmac_f32 v5, -0.5, v0 :: v_dual_sub_f32 v8, v3, v6
	s_delay_alu instid0(VALU_DEP_1) | instskip(NEXT) | instid1(VALU_DEP_2)
	v_mul_f32_e32 v5, 0x47c35000, v5
	v_cmp_ge_f32_e64 s2, |v8|, 0.5
	s_delay_alu instid0(VALU_DEP_2) | instskip(NEXT) | instid1(VALU_DEP_2)
	v_trunc_f32_e32 v7, v5
	v_cndmask_b32_e64 v8, 0, 1.0, s2
	s_delay_alu instid0(VALU_DEP_2) | instskip(NEXT) | instid1(VALU_DEP_2)
	v_sub_f32_e32 v9, v5, v7
	v_bfi_b32 v3, 0x7fffffff, v8, v3
	s_delay_alu instid0(VALU_DEP_2) | instskip(NEXT) | instid1(VALU_DEP_1)
	v_cmp_ge_f32_e64 s2, |v9|, 0.5
	v_cndmask_b32_e64 v9, 0, 1.0, s2
	s_delay_alu instid0(VALU_DEP_1) | instskip(NEXT) | instid1(VALU_DEP_1)
	v_bfi_b32 v5, 0x7fffffff, v9, v5
	v_add_f32_e32 v5, v7, v5
	s_delay_alu instid0(VALU_DEP_1) | instskip(NEXT) | instid1(VALU_DEP_1)
	v_div_scale_f32 v7, null, 0x47c35000, 0x47c35000, v5
	v_rcp_f32_e32 v9, v7
	v_nop
	s_delay_alu instid0(TRANS32_DEP_1) | instskip(NEXT) | instid1(VALU_DEP_1)
	v_fma_f32 v11, -v7, v9, 1.0
	v_dual_add_f32 v3, v6, v3 :: v_dual_fmac_f32 v9, v11, v9
	s_delay_alu instid0(VALU_DEP_1) | instskip(SKIP_1) | instid1(VALU_DEP_2)
	v_div_scale_f32 v6, null, 0x47c35000, 0x47c35000, v3
	v_div_scale_f32 v12, vcc_lo, v3, 0x47c35000, v3
	v_rcp_f32_e32 v8, v6
	v_nop
	s_delay_alu instid0(TRANS32_DEP_1) | instskip(NEXT) | instid1(VALU_DEP_1)
	v_fma_f32 v10, -v6, v8, 1.0
	v_fmac_f32_e32 v8, v10, v8
	v_div_scale_f32 v10, s2, v5, 0x47c35000, v5
	s_delay_alu instid0(VALU_DEP_1) | instskip(NEXT) | instid1(VALU_DEP_1)
	v_dual_mul_f32 v11, v12, v8 :: v_dual_mul_f32 v13, v10, v9
	v_dual_fma_f32 v14, -v6, v11, v12 :: v_dual_fma_f32 v15, -v7, v13, v10
	s_delay_alu instid0(VALU_DEP_1) | instskip(NEXT) | instid1(VALU_DEP_1)
	v_dual_fmac_f32 v11, v14, v8 :: v_dual_fmac_f32 v13, v15, v9
	v_dual_fma_f32 v6, -v6, v11, v12 :: v_dual_fma_f32 v7, -v7, v13, v10
	s_delay_alu instid0(VALU_DEP_1) | instskip(SKIP_1) | instid1(VALU_DEP_2)
	v_div_fmas_f32 v6, v6, v8, v11
	s_mov_b32 vcc_lo, s2
	v_div_fmas_f32 v7, v7, v9, v13
	s_delay_alu instid0(VALU_DEP_2) | instskip(NEXT) | instid1(VALU_DEP_2)
	v_div_fixup_f32 v3, v6, 0x47c35000, v3
	v_div_fixup_f32 v5, v7, 0x47c35000, v5
	s_delay_alu instid0(VALU_DEP_1) | instskip(NEXT) | instid1(VALU_DEP_1)
	v_dual_mul_f32 v6, v3, v3 :: v_dual_mul_f32 v7, v5, v5
	v_mul_f32_e32 v8, v3, v6
	s_wait_kmcnt 0x0
	global_store_b32 v4, v7, s[8:9] scale_offset
	s_wait_xcnt 0x0
	v_fmac_f32_e32 v7, v3, v6
	s_clause 0x6
	global_store_b32 v4, v1, s[12:13] scale_offset
	global_store_b32 v4, v0, s[16:17] scale_offset
	;; [unrolled: 1-line block ×7, first 2 shown]
.LBB0_2:
	s_endpgm
	.section	.rodata,"a",@progbits
	.p2align	6, 0x0
	.amdhsa_kernel _Z5QRdeliPKfS0_S0_S0_PfS1_S1_S1_S1_S1_S1_S1_
		.amdhsa_group_segment_fixed_size 0
		.amdhsa_private_segment_fixed_size 0
		.amdhsa_kernarg_size 360
		.amdhsa_user_sgpr_count 2
		.amdhsa_user_sgpr_dispatch_ptr 0
		.amdhsa_user_sgpr_queue_ptr 0
		.amdhsa_user_sgpr_kernarg_segment_ptr 1
		.amdhsa_user_sgpr_dispatch_id 0
		.amdhsa_user_sgpr_kernarg_preload_length 0
		.amdhsa_user_sgpr_kernarg_preload_offset 0
		.amdhsa_user_sgpr_private_segment_size 0
		.amdhsa_wavefront_size32 1
		.amdhsa_uses_dynamic_stack 0
		.amdhsa_enable_private_segment 0
		.amdhsa_system_sgpr_workgroup_id_x 1
		.amdhsa_system_sgpr_workgroup_id_y 0
		.amdhsa_system_sgpr_workgroup_id_z 0
		.amdhsa_system_sgpr_workgroup_info 0
		.amdhsa_system_vgpr_workitem_id 0
		.amdhsa_next_free_vgpr 30
		.amdhsa_next_free_sgpr 20
		.amdhsa_named_barrier_count 0
		.amdhsa_reserve_vcc 1
		.amdhsa_float_round_mode_32 0
		.amdhsa_float_round_mode_16_64 0
		.amdhsa_float_denorm_mode_32 3
		.amdhsa_float_denorm_mode_16_64 3
		.amdhsa_fp16_overflow 0
		.amdhsa_memory_ordered 1
		.amdhsa_forward_progress 1
		.amdhsa_inst_pref_size 11
		.amdhsa_round_robin_scheduling 0
		.amdhsa_exception_fp_ieee_invalid_op 0
		.amdhsa_exception_fp_denorm_src 0
		.amdhsa_exception_fp_ieee_div_zero 0
		.amdhsa_exception_fp_ieee_overflow 0
		.amdhsa_exception_fp_ieee_underflow 0
		.amdhsa_exception_fp_ieee_inexact 0
		.amdhsa_exception_int_div_zero 0
	.end_amdhsa_kernel
	.text
.Lfunc_end0:
	.size	_Z5QRdeliPKfS0_S0_S0_PfS1_S1_S1_S1_S1_S1_S1_, .Lfunc_end0-_Z5QRdeliPKfS0_S0_S0_PfS1_S1_S1_S1_S1_S1_S1_
                                        ; -- End function
	.set _Z5QRdeliPKfS0_S0_S0_PfS1_S1_S1_S1_S1_S1_S1_.num_vgpr, 30
	.set _Z5QRdeliPKfS0_S0_S0_PfS1_S1_S1_S1_S1_S1_S1_.num_agpr, 0
	.set _Z5QRdeliPKfS0_S0_S0_PfS1_S1_S1_S1_S1_S1_S1_.numbered_sgpr, 20
	.set _Z5QRdeliPKfS0_S0_S0_PfS1_S1_S1_S1_S1_S1_S1_.num_named_barrier, 0
	.set _Z5QRdeliPKfS0_S0_S0_PfS1_S1_S1_S1_S1_S1_S1_.private_seg_size, 0
	.set _Z5QRdeliPKfS0_S0_S0_PfS1_S1_S1_S1_S1_S1_S1_.uses_vcc, 1
	.set _Z5QRdeliPKfS0_S0_S0_PfS1_S1_S1_S1_S1_S1_S1_.uses_flat_scratch, 0
	.set _Z5QRdeliPKfS0_S0_S0_PfS1_S1_S1_S1_S1_S1_S1_.has_dyn_sized_stack, 0
	.set _Z5QRdeliPKfS0_S0_S0_PfS1_S1_S1_S1_S1_S1_S1_.has_recursion, 0
	.set _Z5QRdeliPKfS0_S0_S0_PfS1_S1_S1_S1_S1_S1_S1_.has_indirect_call, 0
	.section	.AMDGPU.csdata,"",@progbits
; Kernel info:
; codeLenInByte = 1392
; TotalNumSgprs: 22
; NumVgprs: 30
; ScratchSize: 0
; MemoryBound: 0
; FloatMode: 240
; IeeeMode: 1
; LDSByteSize: 0 bytes/workgroup (compile time only)
; SGPRBlocks: 0
; VGPRBlocks: 1
; NumSGPRsForWavesPerEU: 22
; NumVGPRsForWavesPerEU: 30
; NamedBarCnt: 0
; Occupancy: 16
; WaveLimiterHint : 0
; COMPUTE_PGM_RSRC2:SCRATCH_EN: 0
; COMPUTE_PGM_RSRC2:USER_SGPR: 2
; COMPUTE_PGM_RSRC2:TRAP_HANDLER: 0
; COMPUTE_PGM_RSRC2:TGID_X_EN: 1
; COMPUTE_PGM_RSRC2:TGID_Y_EN: 0
; COMPUTE_PGM_RSRC2:TGID_Z_EN: 0
; COMPUTE_PGM_RSRC2:TIDIG_COMP_CNT: 0
	.text
	.protected	_Z13QuarticSolveriPKfS0_S0_S0_S0_S0_S0_S0_PfS1_S1_S1_S1_S1_S1_ ; -- Begin function _Z13QuarticSolveriPKfS0_S0_S0_S0_S0_S0_S0_PfS1_S1_S1_S1_S1_S1_
	.globl	_Z13QuarticSolveriPKfS0_S0_S0_S0_S0_S0_S0_PfS1_S1_S1_S1_S1_S1_
	.p2align	8
	.type	_Z13QuarticSolveriPKfS0_S0_S0_S0_S0_S0_S0_PfS1_S1_S1_S1_S1_S1_,@function
_Z13QuarticSolveriPKfS0_S0_S0_S0_S0_S0_S0_PfS1_S1_S1_S1_S1_S1_: ; @_Z13QuarticSolveriPKfS0_S0_S0_S0_S0_S0_S0_PfS1_S1_S1_S1_S1_S1_
; %bb.0:
	s_clause 0x1
	s_load_b32 s2, s[0:1], 0x8c
	s_load_b32 s3, s[0:1], 0x0
	s_bfe_u32 s4, ttmp6, 0x4000c
	s_and_b32 s5, ttmp6, 15
	s_add_co_i32 s4, s4, 1
	s_getreg_b32 s6, hwreg(HW_REG_IB_STS2, 6, 4)
	s_mul_i32 s4, ttmp9, s4
	s_delay_alu instid0(SALU_CYCLE_1) | instskip(SKIP_4) | instid1(SALU_CYCLE_1)
	s_add_co_i32 s5, s5, s4
	s_wait_kmcnt 0x0
	s_and_b32 s2, s2, 0xffff
	s_cmp_eq_u32 s6, 0
	s_cselect_b32 s4, ttmp9, s5
	v_mad_u32 v0, s4, s2, v0
	s_mov_b32 s2, exec_lo
	s_delay_alu instid0(VALU_DEP_1)
	v_cmpx_gt_i32_e64 s3, v0
	s_cbranch_execz .LBB1_26
; %bb.1:
	s_load_b512 s[4:19], s[0:1], 0x8
	v_ashrrev_i32_e32 v1, 31, v0
                                        ; implicit-def: $vgpr6
	s_mov_b32 s2, exec_lo
	s_wait_kmcnt 0x0
	s_clause 0x1
	global_load_b32 v5, v0, s[18:19] scale_offset
	global_load_b32 v4, v0, s[16:17] scale_offset
	s_clause 0x1
	s_load_b64 s[20:21], s[0:1], 0x68
	s_load_b128 s[16:19], s[0:1], 0x58
	v_lshlrev_b64_e32 v[2:3], 2, v[0:1]
	s_wait_loadcnt 0x1
	v_cmpx_ge_f32_e32 0x3727c5ac, v5
	s_xor_b32 s22, exec_lo, s2
	s_cbranch_execz .LBB1_23
; %bb.2:
	s_delay_alu instid0(VALU_DEP_2) | instskip(SKIP_4) | instid1(VALU_DEP_1)
	v_add_nc_u64_e32 v[6:7], s[14:15], v[2:3]
	s_load_b128 s[24:27], s[0:1], 0x48
	global_load_b32 v5, v[6:7], off
	s_wait_loadcnt 0x0
	v_mul_f32_e32 v6, v5, v5
	v_mul_f32_e64 v6, v6, -v5
	s_delay_alu instid0(VALU_DEP_1) | instskip(SKIP_1) | instid1(VALU_DEP_2)
	v_mul_f32_e32 v7, 0x4f800000, v6
	v_cmp_gt_f32_e32 vcc_lo, 0xf800000, v6
	v_cndmask_b32_e32 v6, v6, v7, vcc_lo
	s_delay_alu instid0(VALU_DEP_1) | instskip(SKIP_1) | instid1(TRANS32_DEP_1)
	v_sqrt_f32_e32 v7, v6
	v_nop
	v_dual_add_nc_u32 v8, -1, v7 :: v_dual_add_nc_u32 v9, 1, v7
	s_delay_alu instid0(VALU_DEP_1) | instskip(NEXT) | instid1(VALU_DEP_1)
	v_dual_fma_f32 v10, -v8, v7, v6 :: v_dual_fma_f32 v11, -v9, v7, v6
	v_cmp_ge_f32_e64 s2, 0, v10
	s_delay_alu instid0(VALU_DEP_1) | instskip(NEXT) | instid1(VALU_DEP_3)
	v_cndmask_b32_e64 v7, v7, v8, s2
	v_cmp_lt_f32_e64 s2, 0, v11
	s_delay_alu instid0(VALU_DEP_1) | instskip(SKIP_1) | instid1(VALU_DEP_1)
	v_cndmask_b32_e64 v7, v7, v9, s2
	s_mov_b32 s2, 0x3d1c21a7
	v_mul_f32_e32 v8, 0x37800000, v7
	s_delay_alu instid0(VALU_DEP_1) | instskip(SKIP_1) | instid1(VALU_DEP_2)
	v_cndmask_b32_e32 v7, v7, v8, vcc_lo
	v_cmp_class_f32_e64 vcc_lo, v6, 0x260
	v_cndmask_b32_e32 v6, v7, v6, vcc_lo
	s_delay_alu instid0(VALU_DEP_1) | instskip(SKIP_1) | instid1(VALU_DEP_2)
	v_div_scale_f32 v7, null, v6, v6, v4
	v_div_scale_f32 v10, vcc_lo, v4, v6, v4
	v_rcp_f32_e32 v8, v7
	v_nop
	s_delay_alu instid0(TRANS32_DEP_1) | instskip(NEXT) | instid1(VALU_DEP_1)
	v_fma_f32 v9, -v7, v8, 1.0
	v_fmac_f32_e32 v8, v9, v8
	s_delay_alu instid0(VALU_DEP_1) | instskip(NEXT) | instid1(VALU_DEP_1)
	v_mul_f32_e32 v9, v10, v8
	v_fma_f32 v11, -v7, v9, v10
	s_delay_alu instid0(VALU_DEP_1) | instskip(NEXT) | instid1(VALU_DEP_1)
	v_fmac_f32_e32 v9, v11, v8
	v_fma_f32 v7, -v7, v9, v10
	s_delay_alu instid0(VALU_DEP_1) | instskip(NEXT) | instid1(VALU_DEP_1)
	v_div_fmas_f32 v7, v7, v8, v9
	v_div_fixup_f32 v4, v7, v6, v4
	s_delay_alu instid0(VALU_DEP_1) | instskip(SKIP_2) | instid1(VALU_DEP_2)
	v_fma_f32 v6, |v4|, -0.5, 0.5
	v_mul_f32_e32 v7, v4, v4
	v_cmp_gt_f32_e64 vcc_lo, |v4|, 0.5
	v_cndmask_b32_e32 v6, v7, v6, vcc_lo
	s_delay_alu instid0(VALU_DEP_1) | instskip(SKIP_2) | instid1(VALU_DEP_2)
	v_fmaak_f32 v7, s2, v6, 0x3c5fc5da
	v_sqrt_f32_e32 v8, v6
	v_cmp_gt_f32_e64 s2, 0, v4
	v_fmaak_f32 v7, v6, v7, 0x3d034c3c
	s_delay_alu instid0(VALU_DEP_1) | instskip(NEXT) | instid1(VALU_DEP_1)
	v_fmaak_f32 v7, v6, v7, 0x3d3641b1
	v_fmaak_f32 v7, v6, v7, 0x3d999bc8
	s_delay_alu instid0(VALU_DEP_1) | instskip(NEXT) | instid1(VALU_DEP_1)
	v_fmaak_f32 v7, v6, v7, 0x3e2aaaac
	v_mul_f32_e32 v6, v6, v7
	s_delay_alu instid0(VALU_DEP_1) | instskip(SKIP_1) | instid1(VALU_DEP_2)
	v_fmac_f32_e32 v8, v8, v6
	v_fmac_f32_e32 v4, v4, v6
	v_add_f32_e32 v7, v8, v8
	s_delay_alu instid0(VALU_DEP_2) | instskip(NEXT) | instid1(VALU_DEP_2)
	v_sub_f32_e32 v4, 0x3fc90fdb, v4
	v_sub_f32_e32 v8, 0x40490fdb, v7
	s_delay_alu instid0(VALU_DEP_1) | instskip(NEXT) | instid1(VALU_DEP_1)
	v_cndmask_b32_e64 v6, v7, v8, s2
	v_cndmask_b32_e32 v6, v4, v6, vcc_lo
	v_mul_f32_e64 v4, 0x4f800000, -v5
	v_cmp_lt_f32_e32 vcc_lo, 0x8f800000, v5
	s_delay_alu instid0(VALU_DEP_3) | instskip(NEXT) | instid1(VALU_DEP_3)
	v_div_scale_f32 v7, null, 0x40400000, 0x40400000, v6
	v_cndmask_b32_e64 v4, -v5, v4, vcc_lo
	s_delay_alu instid0(VALU_DEP_2) | instskip(NEXT) | instid1(VALU_DEP_1)
	v_rcp_f32_e32 v5, v7
	v_sqrt_f32_e32 v8, v4
	s_delay_alu instid0(TRANS32_DEP_2) | instskip(NEXT) | instid1(TRANS32_DEP_1)
	v_fma_f32 v9, -v7, v5, 1.0
	v_dual_add_nc_u32 v10, -1, v8 :: v_dual_add_nc_u32 v11, 1, v8
	s_delay_alu instid0(VALU_DEP_2) | instskip(SKIP_1) | instid1(VALU_DEP_3)
	v_fmac_f32_e32 v5, v9, v5
	v_div_scale_f32 v9, s2, v6, 0x40400000, v6
	v_dual_fma_f32 v12, -v10, v8, v4 :: v_dual_fma_f32 v13, -v11, v8, v4
	s_delay_alu instid0(VALU_DEP_2) | instskip(NEXT) | instid1(VALU_DEP_2)
	v_mul_f32_e32 v14, v9, v5
	v_cmp_ge_f32_e64 s3, 0, v12
	s_delay_alu instid0(VALU_DEP_1) | instskip(NEXT) | instid1(VALU_DEP_4)
	v_cndmask_b32_e64 v8, v8, v10, s3
	v_cmp_lt_f32_e64 s3, 0, v13
	s_delay_alu instid0(VALU_DEP_4) | instskip(SKIP_2) | instid1(VALU_DEP_2)
	v_fma_f32 v10, -v7, v14, v9
	s_wait_kmcnt 0x0
	v_add_nc_u64_e32 v[12:13], s[26:27], v[2:3]
	v_dual_cndmask_b32 v8, v8, v11, s3 :: v_dual_fmac_f32 v14, v10, v5
	s_mov_b32 s3, exec_lo
	s_delay_alu instid0(VALU_DEP_1) | instskip(NEXT) | instid1(VALU_DEP_2)
	v_mul_f32_e32 v10, 0x37800000, v8
	v_fma_f32 v7, -v7, v14, v9
	s_delay_alu instid0(VALU_DEP_2) | instskip(SKIP_2) | instid1(VALU_DEP_3)
	v_cndmask_b32_e32 v8, v8, v10, vcc_lo
	s_mov_b32 vcc_lo, s2
	v_add_nc_u64_e32 v[10:11], s[24:25], v[2:3]
	v_div_fmas_f32 v5, v7, v5, v14
	v_cmp_class_f32_e64 vcc_lo, v4, 0x260
	v_cndmask_b32_e32 v7, v8, v4, vcc_lo
	s_delay_alu instid0(VALU_DEP_3) | instskip(NEXT) | instid1(VALU_DEP_2)
	v_div_fixup_f32 v4, v5, 0x40400000, v6
                                        ; implicit-def: $vgpr5
	v_add_f32_e32 v8, v7, v7
	global_store_b32 v[10:11], v6, off
	global_store_b32 v[12:13], v8, off
                                        ; implicit-def: $vgpr7
	s_wait_xcnt 0x0
	v_cmpx_ngt_f32_e64 0x48000000, |v4|
	s_xor_b32 s14, exec_lo, s3
	s_cbranch_execz .LBB1_4
; %bb.3:
	v_and_b32_e32 v5, 0x7fffffff, v4
	s_mov_b32 s2, 0x7fffff
	v_mov_b32_e32 v11, 0
	s_delay_alu instid0(VALU_DEP_2) | instskip(SKIP_2) | instid1(VALU_DEP_2)
	v_and_or_b32 v10, v5, s2, 0x800000
	s_mov_b64 s[2:3], 0xfe5163ab
	v_lshrrev_b32_e32 v5, 23, v5
	v_mul_u64_e32 v[12:13], s[2:3], v[10:11]
	s_delay_alu instid0(VALU_DEP_1) | instskip(SKIP_2) | instid1(VALU_DEP_3)
	v_dual_mov_b32 v14, v13 :: v_dual_mov_b32 v15, v11
	v_dual_mov_b32 v17, v11 :: v_dual_mov_b32 v19, v11
	v_mov_b32_e32 v21, v11
	v_mad_nc_u64_u32 v[14:15], 0x3c439041, v10, v[14:15]
	s_delay_alu instid0(VALU_DEP_1) | instskip(NEXT) | instid1(VALU_DEP_1)
	v_mov_b32_e32 v16, v15
	v_mad_nc_u64_u32 v[16:17], 0xdb629599, v10, v[16:17]
	s_delay_alu instid0(VALU_DEP_1) | instskip(NEXT) | instid1(VALU_DEP_1)
	v_mov_b32_e32 v18, v17
	v_mad_nc_u64_u32 v[18:19], 0xf534ddc0, v10, v[18:19]
	s_delay_alu instid0(VALU_DEP_1) | instskip(NEXT) | instid1(VALU_DEP_1)
	v_mov_b32_e32 v20, v19
	v_mad_nc_u64_u32 v[20:21], 0xfc2757d1, v10, v[20:21]
	s_delay_alu instid0(VALU_DEP_1) | instskip(NEXT) | instid1(VALU_DEP_1)
	v_dual_mov_b32 v23, v11 :: v_dual_mov_b32 v22, v21
	v_mad_nc_u64_u32 v[22:23], 0x4e441529, v10, v[22:23]
	s_delay_alu instid0(VALU_DEP_1) | instskip(NEXT) | instid1(VALU_DEP_1)
	v_dual_mov_b32 v24, v23 :: v_dual_add_nc_u32 v5, 0xffffff88, v5
	v_cmp_lt_u32_e32 vcc_lo, 63, v5
	v_mov_b32_e32 v25, v11
	v_cndmask_b32_e64 v7, 0, 0xffffffc0, vcc_lo
	s_delay_alu instid0(VALU_DEP_2) | instskip(SKIP_1) | instid1(VALU_DEP_3)
	v_mad_nc_u64_u32 v[10:11], 0xa2f9836e, v10, v[24:25]
	v_dual_cndmask_b32 v9, v22, v18, vcc_lo :: v_dual_cndmask_b32 v13, v20, v16, vcc_lo
	v_dual_cndmask_b32 v12, v16, v12 :: v_dual_add_nc_u32 v5, v7, v5
	s_delay_alu instid0(VALU_DEP_1) | instskip(NEXT) | instid1(VALU_DEP_4)
	v_cmp_lt_u32_e64 s2, 31, v5
	v_dual_cndmask_b32 v10, v10, v20 :: v_dual_cndmask_b32 v11, v11, v22
	s_delay_alu instid0(VALU_DEP_2) | instskip(NEXT) | instid1(VALU_DEP_1)
	v_cndmask_b32_e64 v7, 0, 0xffffffe0, s2
	v_add_nc_u32_e32 v5, v7, v5
	s_delay_alu instid0(VALU_DEP_1) | instskip(NEXT) | instid1(VALU_DEP_1)
	v_cmp_lt_u32_e64 s3, 31, v5
	v_cndmask_b32_e64 v7, 0, 0xffffffe0, s3
	s_delay_alu instid0(VALU_DEP_1) | instskip(SKIP_2) | instid1(VALU_DEP_3)
	v_dual_add_nc_u32 v5, v7, v5 :: v_dual_cndmask_b32 v7, v18, v14, vcc_lo
	v_dual_cndmask_b32 v14, v10, v9, s2 :: v_dual_cndmask_b32 v10, v11, v10, s2
	v_cndmask_b32_e64 v9, v9, v13, s2
	v_dual_sub_nc_u32 v11, 32, v5 :: v_dual_cndmask_b32 v13, v13, v7, s2
	v_cmp_eq_u32_e32 vcc_lo, 0, v5
	s_delay_alu instid0(VALU_DEP_4) | instskip(NEXT) | instid1(VALU_DEP_4)
	v_cndmask_b32_e64 v10, v10, v14, s3
	v_cndmask_b32_e64 v14, v14, v9, s3
	s_delay_alu instid0(VALU_DEP_4) | instskip(NEXT) | instid1(VALU_DEP_2)
	v_cndmask_b32_e64 v9, v9, v13, s3
	v_alignbit_b32 v15, v10, v14, v11
	s_delay_alu instid0(VALU_DEP_2) | instskip(SKIP_1) | instid1(VALU_DEP_3)
	v_alignbit_b32 v16, v14, v9, v11
	v_cndmask_b32_e64 v7, v7, v12, s2
	v_cndmask_b32_e32 v5, v15, v10, vcc_lo
	s_delay_alu instid0(VALU_DEP_2) | instskip(NEXT) | instid1(VALU_DEP_2)
	v_dual_cndmask_b32 v10, v16, v14, vcc_lo :: v_dual_cndmask_b32 v7, v13, v7, s3
	v_bfe_u32 v12, v5, 29, 1
	s_delay_alu instid0(VALU_DEP_2) | instskip(NEXT) | instid1(VALU_DEP_3)
	v_alignbit_b32 v13, v5, v10, 30
	v_alignbit_b32 v11, v9, v7, v11
	s_delay_alu instid0(VALU_DEP_1) | instskip(NEXT) | instid1(VALU_DEP_1)
	v_dual_cndmask_b32 v9, v11, v9 :: v_dual_sub_nc_u32 v14, 0, v12
	v_xor_b32_e32 v13, v13, v14
	s_delay_alu instid0(VALU_DEP_2) | instskip(SKIP_1) | instid1(VALU_DEP_3)
	v_alignbit_b32 v10, v10, v9, 30
	v_alignbit_b32 v7, v9, v7, 30
	v_clz_i32_u32_e32 v11, v13
	s_delay_alu instid0(VALU_DEP_3) | instskip(NEXT) | instid1(VALU_DEP_3)
	v_xor_b32_e32 v9, v10, v14
	v_xor_b32_e32 v7, v7, v14
	s_delay_alu instid0(VALU_DEP_3) | instskip(NEXT) | instid1(VALU_DEP_1)
	v_min_u32_e32 v11, 32, v11
	v_dual_lshrrev_b32 v14, 29, v5 :: v_dual_sub_nc_u32 v10, 31, v11
	v_lshlrev_b32_e32 v15, 23, v11
	s_delay_alu instid0(VALU_DEP_2) | instskip(SKIP_1) | instid1(VALU_DEP_4)
	v_alignbit_b32 v13, v13, v9, v10
	v_alignbit_b32 v7, v9, v7, v10
	v_lshlrev_b32_e32 v9, 31, v14
	s_delay_alu instid0(VALU_DEP_2) | instskip(NEXT) | instid1(VALU_DEP_2)
	v_alignbit_b32 v10, v13, v7, 9
	v_or_b32_e32 v14, 0.5, v9
	v_lshrrev_b32_e32 v13, 9, v13
	v_or_b32_e32 v9, 0x33000000, v9
	s_delay_alu instid0(VALU_DEP_4) | instskip(NEXT) | instid1(VALU_DEP_4)
	v_clz_i32_u32_e32 v16, v10
	v_sub_nc_u32_e32 v14, v14, v15
	s_delay_alu instid0(VALU_DEP_2) | instskip(NEXT) | instid1(VALU_DEP_2)
	v_min_u32_e32 v15, 32, v16
	v_or_b32_e32 v13, v13, v14
	s_delay_alu instid0(VALU_DEP_2) | instskip(SKIP_1) | instid1(VALU_DEP_2)
	v_not_b32_e32 v14, v15
	v_add_lshl_u32 v11, v15, v11, 23
	v_alignbit_b32 v7, v10, v7, v14
	s_delay_alu instid0(VALU_DEP_2) | instskip(NEXT) | instid1(VALU_DEP_2)
	v_sub_nc_u32_e32 v9, v9, v11
	v_dual_mul_f32 v16, 0x3fc90fda, v13 :: v_dual_lshrrev_b32 v7, 9, v7
	s_delay_alu instid0(VALU_DEP_1) | instskip(NEXT) | instid1(VALU_DEP_2)
	v_or_b32_e32 v7, v9, v7
	v_fma_f32 v10, 0x3fc90fda, v13, -v16
	s_delay_alu instid0(VALU_DEP_1) | instskip(NEXT) | instid1(VALU_DEP_1)
	v_fmamk_f32 v10, v13, 0x33a22168, v10
	v_dual_fmac_f32 v10, 0x3fc90fda, v7 :: v_dual_lshrrev_b32 v7, 30, v5
	s_delay_alu instid0(VALU_DEP_1) | instskip(NEXT) | instid1(VALU_DEP_2)
	v_add_nc_u32_e32 v7, v12, v7
	v_add_f32_e32 v5, v16, v10
.LBB1_4:
	s_and_not1_saveexec_b32 s2, s14
; %bb.5:
	v_mul_f32_e64 v5, 0x3f22f983, |v4|
	s_delay_alu instid0(VALU_DEP_1) | instskip(NEXT) | instid1(VALU_DEP_1)
	v_rndne_f32_e32 v7, v5
	v_fma_f32 v5, 0xbfc90fda, v7, |v4|
	s_delay_alu instid0(VALU_DEP_1) | instskip(NEXT) | instid1(VALU_DEP_1)
	v_fmamk_f32 v5, v7, 0xb3a22168, v5
	v_fmamk_f32 v5, v7, 0xa7c234c4, v5
	v_cvt_i32_f32_e32 v7, v7
; %bb.6:
	s_or_b32 exec_lo, exec_lo, s2
	v_add_nc_u64_e32 v[10:11], s[12:13], v[2:3]
	s_mov_b32 s2, 0xb94c1982
	s_mov_b32 s3, 0x37d75334
	v_mul_f32_e32 v13, v5, v5
	global_load_b32 v9, v[10:11], off
	s_wait_xcnt 0x0
	v_add_f32_e32 v10, 0x40c90fdb, v6
	s_delay_alu instid0(VALU_DEP_1) | instskip(NEXT) | instid1(VALU_DEP_1)
	v_div_scale_f32 v12, null, 0x40400000, 0x40400000, v10
	v_rcp_f32_e32 v15, v12
	v_nop
	s_delay_alu instid0(TRANS32_DEP_1) | instskip(SKIP_2) | instid1(VALU_DEP_2)
	v_fma_f32 v20, -v12, v15, 1.0
	v_fmaak_f32 v16, s2, v13, 0x3c0881c4
	v_div_scale_f32 v19, s2, v10, 0x40400000, v10
	v_dual_fmac_f32 v15, v20, v15 :: v_dual_fmaak_f32 v16, v13, v16, 0xbe2aaa9d
	s_delay_alu instid0(VALU_DEP_1) | instskip(SKIP_3) | instid1(VALU_DEP_2)
	v_mul_f32_e32 v20, v19, v15
	s_wait_loadcnt 0x0
	v_div_scale_f32 v11, null, 0x40400000, 0x40400000, v9
	v_div_scale_f32 v21, vcc_lo, v9, 0x40400000, v9
	v_rcp_f32_e32 v14, v11
	v_nop
	s_delay_alu instid0(TRANS32_DEP_1) | instskip(NEXT) | instid1(VALU_DEP_1)
	v_fma_f32 v18, -v11, v14, 1.0
	v_dual_fmaak_f32 v17, s3, v13, 0xbab64f3b :: v_dual_fmac_f32 v14, v18, v14
	s_delay_alu instid0(VALU_DEP_1) | instskip(SKIP_1) | instid1(VALU_DEP_3)
	v_dual_mul_f32 v18, v21, v14 :: v_dual_bitop2_b32 v22, 1, v7 bitop3:0x40
	v_lshlrev_b32_e32 v7, 30, v7
	v_dual_fmaak_f32 v17, v13, v17, 0x3d2aabf7 :: v_dual_mul_f32 v16, v13, v16
	s_delay_alu instid0(VALU_DEP_3) | instskip(NEXT) | instid1(VALU_DEP_4)
	v_fma_f32 v23, -v11, v18, v21
	v_cmp_eq_u32_e64 s3, 0, v22
	s_delay_alu instid0(VALU_DEP_3) | instskip(NEXT) | instid1(VALU_DEP_3)
	v_fmaak_f32 v17, v13, v17, 0xbf000004
	v_dual_fmac_f32 v5, v5, v16 :: v_dual_fmac_f32 v18, v23, v14
	s_delay_alu instid0(VALU_DEP_2) | instskip(SKIP_1) | instid1(VALU_DEP_1)
	v_fma_f32 v13, v13, v17, 1.0
	v_fma_f32 v16, -v12, v20, v19
	v_dual_fmac_f32 v20, v16, v15 :: v_dual_cndmask_b32 v5, -v5, v13, s3
	s_delay_alu instid0(VALU_DEP_4) | instskip(SKIP_1) | instid1(VALU_DEP_2)
	v_fma_f32 v11, -v11, v18, v21
	s_mov_b32 s3, exec_lo
	v_bitop3_b32 v5, v7, v5, 0x80000000 bitop3:0x6c
	s_delay_alu instid0(VALU_DEP_3) | instskip(NEXT) | instid1(VALU_DEP_3)
	v_fma_f32 v7, -v12, v20, v19
	v_div_fmas_f32 v11, v11, v14, v18
	s_mov_b32 vcc_lo, s2
	s_delay_alu instid0(VALU_DEP_2) | instskip(SKIP_1) | instid1(VALU_DEP_3)
	v_div_fmas_f32 v7, v7, v15, v20
	v_cmp_class_f32_e64 vcc_lo, v4, 0x1f8
	v_div_fixup_f32 v9, v11, 0x40400000, v9
                                        ; implicit-def: $vgpr11
	s_delay_alu instid0(VALU_DEP_3) | instskip(SKIP_2) | instid1(VALU_DEP_2)
	v_div_fixup_f32 v7, v7, 0x40400000, v10
	v_cndmask_b32_e32 v12, 0x7fc00000, v5, vcc_lo
	v_add_nc_u64_e32 v[4:5], s[16:17], v[2:3]
                                        ; implicit-def: $vgpr10
	v_fma_f32 v14, v8, v12, -v9
	global_store_b32 v[4:5], v14, off
	s_wait_xcnt 0x0
	v_cmpx_ngt_f32_e64 0x48000000, |v7|
	s_xor_b32 s14, exec_lo, s3
	s_cbranch_execz .LBB1_8
; %bb.7:
	v_and_b32_e32 v15, 0x7fffffff, v7
	s_mov_b32 s2, 0x7fffff
	v_mov_b32_e32 v11, 0
	s_delay_alu instid0(VALU_DEP_2)
	v_and_or_b32 v10, v15, s2, 0x800000
	s_mov_b64 s[2:3], 0xfe5163ab
	s_delay_alu instid0(VALU_DEP_1) | instid1(SALU_CYCLE_1)
	v_mul_u64_e32 v[12:13], s[2:3], v[10:11]
	s_delay_alu instid0(VALU_DEP_1) | instskip(SKIP_2) | instid1(VALU_DEP_3)
	v_dual_mov_b32 v16, v13 :: v_dual_mov_b32 v17, v11
	v_dual_mov_b32 v19, v11 :: v_dual_mov_b32 v21, v11
	v_dual_mov_b32 v23, v11 :: v_dual_lshrrev_b32 v13, 23, v15
	v_mad_nc_u64_u32 v[16:17], 0x3c439041, v10, v[16:17]
	s_delay_alu instid0(VALU_DEP_1) | instskip(NEXT) | instid1(VALU_DEP_1)
	v_mov_b32_e32 v18, v17
	v_mad_nc_u64_u32 v[18:19], 0xdb629599, v10, v[18:19]
	s_delay_alu instid0(VALU_DEP_1) | instskip(NEXT) | instid1(VALU_DEP_1)
	v_mov_b32_e32 v20, v19
	;; [unrolled: 3-line block ×3, first 2 shown]
	v_mad_nc_u64_u32 v[22:23], 0xfc2757d1, v10, v[22:23]
	s_delay_alu instid0(VALU_DEP_1) | instskip(NEXT) | instid1(VALU_DEP_1)
	v_dual_mov_b32 v25, v11 :: v_dual_mov_b32 v24, v23
	v_mad_nc_u64_u32 v[24:25], 0x4e441529, v10, v[24:25]
	s_delay_alu instid0(VALU_DEP_1) | instskip(NEXT) | instid1(VALU_DEP_1)
	v_dual_mov_b32 v26, v25 :: v_dual_add_nc_u32 v13, 0xffffff88, v13
	v_cmp_lt_u32_e32 vcc_lo, 63, v13
	v_mov_b32_e32 v27, v11
	v_cndmask_b32_e64 v15, 0, 0xffffffc0, vcc_lo
	s_delay_alu instid0(VALU_DEP_2) | instskip(SKIP_1) | instid1(VALU_DEP_3)
	v_mad_nc_u64_u32 v[10:11], 0xa2f9836e, v10, v[26:27]
	v_dual_cndmask_b32 v17, v24, v20, vcc_lo :: v_dual_cndmask_b32 v19, v22, v18, vcc_lo
	v_dual_cndmask_b32 v12, v18, v12 :: v_dual_add_nc_u32 v13, v15, v13
	s_delay_alu instid0(VALU_DEP_1) | instskip(NEXT) | instid1(VALU_DEP_4)
	v_cmp_lt_u32_e64 s2, 31, v13
	v_dual_cndmask_b32 v10, v10, v22 :: v_dual_cndmask_b32 v11, v11, v24
	s_delay_alu instid0(VALU_DEP_2) | instskip(NEXT) | instid1(VALU_DEP_1)
	v_cndmask_b32_e64 v15, 0, 0xffffffe0, s2
	v_add_nc_u32_e32 v13, v15, v13
	s_delay_alu instid0(VALU_DEP_1) | instskip(NEXT) | instid1(VALU_DEP_1)
	v_cmp_lt_u32_e64 s3, 31, v13
	v_cndmask_b32_e64 v15, 0, 0xffffffe0, s3
	s_delay_alu instid0(VALU_DEP_1) | instskip(SKIP_1) | instid1(VALU_DEP_2)
	v_dual_add_nc_u32 v13, v15, v13 :: v_dual_cndmask_b32 v15, v20, v16, vcc_lo
	v_dual_cndmask_b32 v16, v10, v17, s2 :: v_dual_cndmask_b32 v10, v11, v10, s2
	v_dual_cndmask_b32 v11, v17, v19, s2 :: v_dual_sub_nc_u32 v17, 32, v13
	s_delay_alu instid0(VALU_DEP_3) | instskip(SKIP_1) | instid1(VALU_DEP_3)
	v_cndmask_b32_e64 v19, v19, v15, s2
	v_cmp_eq_u32_e32 vcc_lo, 0, v13
	v_dual_cndmask_b32 v10, v10, v16, s3 :: v_dual_cndmask_b32 v16, v16, v11, s3
	v_cndmask_b32_e64 v12, v15, v12, s2
	s_delay_alu instid0(VALU_DEP_4) | instskip(NEXT) | instid1(VALU_DEP_3)
	v_cndmask_b32_e64 v11, v11, v19, s3
	v_alignbit_b32 v20, v10, v16, v17
	s_delay_alu instid0(VALU_DEP_2) | instskip(NEXT) | instid1(VALU_DEP_2)
	v_alignbit_b32 v18, v16, v11, v17
	v_cndmask_b32_e32 v10, v20, v10, vcc_lo
	s_delay_alu instid0(VALU_DEP_1) | instskip(NEXT) | instid1(VALU_DEP_1)
	v_bfe_u32 v15, v10, 29, 1
	v_dual_cndmask_b32 v13, v18, v16 :: v_dual_sub_nc_u32 v18, 0, v15
	s_delay_alu instid0(VALU_DEP_1) | instskip(NEXT) | instid1(VALU_DEP_1)
	v_alignbit_b32 v16, v10, v13, 30
	v_dual_cndmask_b32 v12, v19, v12, s3 :: v_dual_bitop2_b32 v16, v16, v18 bitop3:0x14
	s_delay_alu instid0(VALU_DEP_1) | instskip(NEXT) | instid1(VALU_DEP_1)
	v_alignbit_b32 v17, v11, v12, v17
	v_cndmask_b32_e32 v11, v17, v11, vcc_lo
	s_delay_alu instid0(VALU_DEP_3) | instskip(NEXT) | instid1(VALU_DEP_2)
	v_clz_i32_u32_e32 v17, v16
	v_alignbit_b32 v13, v13, v11, 30
	s_delay_alu instid0(VALU_DEP_2) | instskip(SKIP_1) | instid1(VALU_DEP_2)
	v_min_u32_e32 v17, 32, v17
	v_alignbit_b32 v11, v11, v12, 30
	v_dual_lshlrev_b32 v19, 23, v17 :: v_dual_bitop2_b32 v12, v13, v18 bitop3:0x14
	s_delay_alu instid0(VALU_DEP_2) | instskip(NEXT) | instid1(VALU_DEP_1)
	v_dual_sub_nc_u32 v13, 31, v17 :: v_dual_bitop2_b32 v11, v11, v18 bitop3:0x14
	v_alignbit_b32 v16, v16, v12, v13
	v_lshrrev_b32_e32 v18, 29, v10
	s_delay_alu instid0(VALU_DEP_3) | instskip(NEXT) | instid1(VALU_DEP_1)
	v_alignbit_b32 v11, v12, v11, v13
	v_alignbit_b32 v13, v16, v11, 9
	s_delay_alu instid0(VALU_DEP_3) | instskip(NEXT) | instid1(VALU_DEP_2)
	v_dual_lshrrev_b32 v16, 9, v16 :: v_dual_lshlrev_b32 v12, 31, v18
	v_clz_i32_u32_e32 v20, v13
	s_delay_alu instid0(VALU_DEP_2) | instskip(SKIP_1) | instid1(VALU_DEP_2)
	v_or_b32_e32 v18, 0.5, v12
	v_or_b32_e32 v12, 0x33000000, v12
	v_sub_nc_u32_e32 v18, v18, v19
	s_delay_alu instid0(VALU_DEP_4) | instskip(NEXT) | instid1(VALU_DEP_2)
	v_min_u32_e32 v19, 32, v20
	v_or_b32_e32 v16, v16, v18
	s_delay_alu instid0(VALU_DEP_2) | instskip(SKIP_1) | instid1(VALU_DEP_2)
	v_not_b32_e32 v18, v19
	v_add_lshl_u32 v17, v19, v17, 23
	v_alignbit_b32 v11, v13, v11, v18
	s_delay_alu instid0(VALU_DEP_1) | instskip(NEXT) | instid1(VALU_DEP_1)
	v_dual_sub_nc_u32 v12, v12, v17 :: v_dual_lshrrev_b32 v11, 9, v11
	v_or_b32_e32 v11, v12, v11
	v_mul_f32_e32 v20, 0x3fc90fda, v16
	s_delay_alu instid0(VALU_DEP_1) | instskip(NEXT) | instid1(VALU_DEP_1)
	v_fma_f32 v13, 0x3fc90fda, v16, -v20
	v_fmamk_f32 v13, v16, 0x33a22168, v13
	s_delay_alu instid0(VALU_DEP_1) | instskip(NEXT) | instid1(VALU_DEP_1)
	v_fmac_f32_e32 v13, 0x3fc90fda, v11
	v_dual_add_f32 v10, v20, v13 :: v_dual_lshrrev_b32 v11, 30, v10
	s_delay_alu instid0(VALU_DEP_1)
	v_add_nc_u32_e32 v11, v15, v11
.LBB1_8:
	s_and_not1_saveexec_b32 s2, s14
; %bb.9:
	v_mul_f32_e64 v10, 0x3f22f983, |v7|
	s_delay_alu instid0(VALU_DEP_1) | instskip(NEXT) | instid1(VALU_DEP_1)
	v_rndne_f32_e32 v11, v10
	v_fma_f32 v10, 0xbfc90fda, v11, |v7|
	s_delay_alu instid0(VALU_DEP_1) | instskip(NEXT) | instid1(VALU_DEP_1)
	v_fmamk_f32 v10, v11, 0xb3a22168, v10
	v_fmamk_f32 v10, v11, 0xa7c234c4, v10
	v_cvt_i32_f32_e32 v11, v11
; %bb.10:
	s_or_b32 exec_lo, exec_lo, s2
	v_add_f32_e32 v6, 0x41490fdb, v6
	s_mov_b32 s2, 0xb94c1982
	s_mov_b32 s3, 0x37d75334
	s_delay_alu instid0(VALU_DEP_1) | instskip(NEXT) | instid1(VALU_DEP_1)
	v_div_scale_f32 v12, null, 0x40400000, 0x40400000, v6
	v_rcp_f32_e32 v13, v12
	v_nop
	s_delay_alu instid0(TRANS32_DEP_1) | instskip(NEXT) | instid1(VALU_DEP_1)
	v_fma_f32 v16, -v12, v13, 1.0
	v_fmac_f32_e32 v13, v16, v13
	v_div_scale_f32 v19, vcc_lo, v6, 0x40400000, v6
	v_mul_f32_e32 v15, v10, v10
	s_delay_alu instid0(VALU_DEP_1) | instskip(SKIP_2) | instid1(VALU_DEP_2)
	v_fmaak_f32 v17, s2, v15, 0x3c0881c4
	v_fmaak_f32 v18, s3, v15, 0xbab64f3b
	s_mov_b32 s3, exec_lo
	v_fmaak_f32 v16, v15, v17, 0xbe2aaa9d
	s_delay_alu instid0(VALU_DEP_2) | instskip(SKIP_1) | instid1(VALU_DEP_3)
	v_fmaak_f32 v17, v15, v18, 0x3d2aabf7
	v_dual_mul_f32 v18, v19, v13 :: v_dual_bitop2_b32 v20, 1, v11 bitop3:0x40
	v_dual_mul_f32 v16, v15, v16 :: v_dual_lshlrev_b32 v11, 30, v11
	s_delay_alu instid0(VALU_DEP_2) | instskip(NEXT) | instid1(VALU_DEP_3)
	v_fma_f32 v21, -v12, v18, v19
	v_cmp_eq_u32_e64 s2, 0, v20
	s_delay_alu instid0(VALU_DEP_3) | instskip(NEXT) | instid1(VALU_DEP_1)
	v_dual_fmac_f32 v10, v10, v16 :: v_dual_fmaak_f32 v17, v15, v17, 0xbf000004
	v_fma_f32 v15, v15, v17, 1.0
	s_delay_alu instid0(VALU_DEP_1) | instskip(NEXT) | instid1(VALU_DEP_1)
	v_dual_fmac_f32 v18, v21, v13 :: v_dual_cndmask_b32 v10, -v10, v15, s2
	v_fma_f32 v12, -v12, v18, v19
	s_delay_alu instid0(VALU_DEP_2) | instskip(NEXT) | instid1(VALU_DEP_2)
	v_bitop3_b32 v10, v11, v10, 0x80000000 bitop3:0x6c
	v_div_fmas_f32 v11, v12, v13, v18
	v_cmp_class_f32_e64 vcc_lo, v7, 0x1f8
                                        ; implicit-def: $vgpr12
	s_delay_alu instid0(VALU_DEP_3) | instskip(NEXT) | instid1(VALU_DEP_3)
	v_cndmask_b32_e32 v7, 0x7fc00000, v10, vcc_lo
	v_div_fixup_f32 v10, v11, 0x40400000, v6
                                        ; implicit-def: $vgpr11
	s_delay_alu instid0(VALU_DEP_2)
	v_fma_f32 v15, v8, v7, -v9
	v_lshl_add_u64 v[6:7], v[0:1], 2, s[18:19]
	global_store_b32 v[6:7], v15, off
	s_wait_xcnt 0x0
	v_cmpx_ngt_f32_e64 0x48000000, |v10|
	s_xor_b32 s14, exec_lo, s3
	s_cbranch_execz .LBB1_12
; %bb.11:
	v_and_b32_e32 v11, 0x7fffffff, v10
	s_mov_b32 s2, 0x7fffff
	v_mov_b32_e32 v13, 0
	s_delay_alu instid0(VALU_DEP_2) | instskip(SKIP_2) | instid1(VALU_DEP_2)
	v_and_or_b32 v12, v11, s2, 0x800000
	s_mov_b64 s[2:3], 0xfe5163ab
	v_lshrrev_b32_e32 v11, 23, v11
	v_mul_u64_e32 v[16:17], s[2:3], v[12:13]
	s_delay_alu instid0(VALU_DEP_1) | instskip(SKIP_2) | instid1(VALU_DEP_3)
	v_dual_mov_b32 v18, v17 :: v_dual_mov_b32 v19, v13
	v_dual_mov_b32 v21, v13 :: v_dual_mov_b32 v23, v13
	v_mov_b32_e32 v25, v13
	v_mad_nc_u64_u32 v[18:19], 0x3c439041, v12, v[18:19]
	s_delay_alu instid0(VALU_DEP_1) | instskip(NEXT) | instid1(VALU_DEP_1)
	v_mov_b32_e32 v20, v19
	v_mad_nc_u64_u32 v[20:21], 0xdb629599, v12, v[20:21]
	s_delay_alu instid0(VALU_DEP_1) | instskip(NEXT) | instid1(VALU_DEP_1)
	;; [unrolled: 3-line block ×4, first 2 shown]
	v_dual_mov_b32 v27, v13 :: v_dual_mov_b32 v26, v25
	v_mad_nc_u64_u32 v[26:27], 0x4e441529, v12, v[26:27]
	s_delay_alu instid0(VALU_DEP_1) | instskip(NEXT) | instid1(VALU_DEP_1)
	v_dual_mov_b32 v28, v27 :: v_dual_add_nc_u32 v11, 0xffffff88, v11
	v_cmp_lt_u32_e32 vcc_lo, 63, v11
	v_mov_b32_e32 v29, v13
	v_cndmask_b32_e64 v17, 0, 0xffffffc0, vcc_lo
	s_delay_alu instid0(VALU_DEP_2) | instskip(SKIP_1) | instid1(VALU_DEP_3)
	v_mad_nc_u64_u32 v[12:13], 0xa2f9836e, v12, v[28:29]
	v_dual_cndmask_b32 v19, v26, v22, vcc_lo :: v_dual_cndmask_b32 v21, v24, v20, vcc_lo
	v_dual_cndmask_b32 v16, v20, v16 :: v_dual_add_nc_u32 v11, v17, v11
	s_delay_alu instid0(VALU_DEP_1) | instskip(NEXT) | instid1(VALU_DEP_4)
	v_cmp_lt_u32_e64 s2, 31, v11
	v_dual_cndmask_b32 v12, v12, v24 :: v_dual_cndmask_b32 v13, v13, v26
	s_delay_alu instid0(VALU_DEP_2) | instskip(NEXT) | instid1(VALU_DEP_1)
	v_cndmask_b32_e64 v17, 0, 0xffffffe0, s2
	v_add_nc_u32_e32 v11, v17, v11
	s_delay_alu instid0(VALU_DEP_1) | instskip(NEXT) | instid1(VALU_DEP_1)
	v_cmp_lt_u32_e64 s3, 31, v11
	v_cndmask_b32_e64 v17, 0, 0xffffffe0, s3
	s_delay_alu instid0(VALU_DEP_1) | instskip(SKIP_1) | instid1(VALU_DEP_2)
	v_dual_add_nc_u32 v11, v17, v11 :: v_dual_cndmask_b32 v17, v22, v18, vcc_lo
	v_dual_cndmask_b32 v18, v12, v19, s2 :: v_dual_cndmask_b32 v12, v13, v12, s2
	v_dual_cndmask_b32 v13, v19, v21, s2 :: v_dual_sub_nc_u32 v19, 32, v11
	s_delay_alu instid0(VALU_DEP_3) | instskip(SKIP_1) | instid1(VALU_DEP_3)
	v_cndmask_b32_e64 v21, v21, v17, s2
	v_cmp_eq_u32_e32 vcc_lo, 0, v11
	v_dual_cndmask_b32 v12, v12, v18, s3 :: v_dual_cndmask_b32 v18, v18, v13, s3
	s_delay_alu instid0(VALU_DEP_3) | instskip(NEXT) | instid1(VALU_DEP_2)
	v_cndmask_b32_e64 v13, v13, v21, s3
	v_alignbit_b32 v22, v12, v18, v19
	s_delay_alu instid0(VALU_DEP_2) | instskip(NEXT) | instid1(VALU_DEP_2)
	v_alignbit_b32 v20, v18, v13, v19
	v_cndmask_b32_e32 v11, v22, v12, vcc_lo
	s_delay_alu instid0(VALU_DEP_2) | instskip(NEXT) | instid1(VALU_DEP_2)
	v_dual_cndmask_b32 v12, v17, v16, s2 :: v_dual_cndmask_b32 v16, v20, v18, vcc_lo
	v_bfe_u32 v17, v11, 29, 1
	s_delay_alu instid0(VALU_DEP_2) | instskip(NEXT) | instid1(VALU_DEP_2)
	v_alignbit_b32 v18, v11, v16, 30
	v_dual_sub_nc_u32 v20, 0, v17 :: v_dual_cndmask_b32 v12, v21, v12, s3
	s_delay_alu instid0(VALU_DEP_1) | instskip(NEXT) | instid1(VALU_DEP_2)
	v_xor_b32_e32 v18, v18, v20
	v_alignbit_b32 v19, v13, v12, v19
	s_delay_alu instid0(VALU_DEP_1) | instskip(NEXT) | instid1(VALU_DEP_3)
	v_cndmask_b32_e32 v13, v19, v13, vcc_lo
	v_clz_i32_u32_e32 v19, v18
	s_delay_alu instid0(VALU_DEP_2) | instskip(NEXT) | instid1(VALU_DEP_2)
	v_alignbit_b32 v16, v16, v13, 30
	v_min_u32_e32 v19, 32, v19
	v_alignbit_b32 v12, v13, v12, 30
	s_delay_alu instid0(VALU_DEP_2) | instskip(NEXT) | instid1(VALU_DEP_2)
	v_dual_sub_nc_u32 v16, 31, v19 :: v_dual_bitop2_b32 v13, v16, v20 bitop3:0x14
	v_dual_lshrrev_b32 v20, 29, v11 :: v_dual_bitop2_b32 v12, v12, v20 bitop3:0x14
	v_lshlrev_b32_e32 v21, 23, v19
	s_delay_alu instid0(VALU_DEP_3) | instskip(NEXT) | instid1(VALU_DEP_3)
	v_alignbit_b32 v18, v18, v13, v16
	v_alignbit_b32 v12, v13, v12, v16
	s_delay_alu instid0(VALU_DEP_4) | instskip(NEXT) | instid1(VALU_DEP_2)
	v_lshlrev_b32_e32 v13, 31, v20
	v_alignbit_b32 v16, v18, v12, 9
	s_delay_alu instid0(VALU_DEP_2) | instskip(SKIP_1) | instid1(VALU_DEP_3)
	v_dual_lshrrev_b32 v18, 9, v18 :: v_dual_bitop2_b32 v20, 0.5, v13 bitop3:0x54
	v_or_b32_e32 v13, 0x33000000, v13
	v_clz_i32_u32_e32 v22, v16
	s_delay_alu instid0(VALU_DEP_3) | instskip(NEXT) | instid1(VALU_DEP_2)
	v_sub_nc_u32_e32 v20, v20, v21
	v_min_u32_e32 v21, 32, v22
	s_delay_alu instid0(VALU_DEP_1) | instskip(NEXT) | instid1(VALU_DEP_3)
	v_add_lshl_u32 v19, v21, v19, 23
	v_or_b32_e32 v18, v18, v20
	v_not_b32_e32 v20, v21
	s_delay_alu instid0(VALU_DEP_2) | instskip(NEXT) | instid1(VALU_DEP_2)
	v_dual_mul_f32 v22, 0x3fc90fda, v18 :: v_dual_sub_nc_u32 v13, v13, v19
	v_alignbit_b32 v12, v16, v12, v20
	s_delay_alu instid0(VALU_DEP_2) | instskip(NEXT) | instid1(VALU_DEP_2)
	v_fma_f32 v16, 0x3fc90fda, v18, -v22
	v_lshrrev_b32_e32 v12, 9, v12
	s_delay_alu instid0(VALU_DEP_2) | instskip(NEXT) | instid1(VALU_DEP_2)
	v_fmamk_f32 v16, v18, 0x33a22168, v16
	v_or_b32_e32 v12, v13, v12
	s_delay_alu instid0(VALU_DEP_1) | instskip(NEXT) | instid1(VALU_DEP_1)
	v_fmac_f32_e32 v16, 0x3fc90fda, v12
	v_dual_add_f32 v11, v22, v16 :: v_dual_lshrrev_b32 v12, 30, v11
	s_delay_alu instid0(VALU_DEP_1)
	v_add_nc_u32_e32 v12, v17, v12
.LBB1_12:
	s_and_not1_saveexec_b32 s2, s14
; %bb.13:
	v_mul_f32_e64 v11, 0x3f22f983, |v10|
	s_delay_alu instid0(VALU_DEP_1) | instskip(NEXT) | instid1(VALU_DEP_1)
	v_rndne_f32_e32 v12, v11
	v_fma_f32 v11, 0xbfc90fda, v12, |v10|
	s_delay_alu instid0(VALU_DEP_1) | instskip(NEXT) | instid1(VALU_DEP_1)
	v_fmamk_f32 v11, v12, 0xb3a22168, v11
	v_fmamk_f32 v11, v12, 0xa7c234c4, v11
	v_cvt_i32_f32_e32 v12, v12
; %bb.14:
	s_or_b32 exec_lo, exec_lo, s2
	s_delay_alu instid0(VALU_DEP_1) | instskip(SKIP_3) | instid1(VALU_DEP_2)
	v_dual_mul_f32 v13, v11, v11 :: v_dual_bitop2_b32 v18, 1, v12 bitop3:0x40
	s_mov_b32 s2, 0xb94c1982
	s_mov_b32 s3, 0x37d75334
	v_lshlrev_b32_e32 v12, 30, v12
	v_fmaak_f32 v16, s2, v13, 0x3c0881c4
	v_cmp_eq_u32_e32 vcc_lo, 0, v18
	s_mov_b32 s2, exec_lo
	s_delay_alu instid0(VALU_DEP_2) | instskip(NEXT) | instid1(VALU_DEP_1)
	v_fmaak_f32 v16, v13, v16, 0xbe2aaa9d
	v_dual_fmaak_f32 v17, s3, v13, 0xbab64f3b :: v_dual_mul_f32 v16, v13, v16
	s_delay_alu instid0(VALU_DEP_1) | instskip(NEXT) | instid1(VALU_DEP_2)
	v_fmaak_f32 v17, v13, v17, 0x3d2aabf7
	v_fmac_f32_e32 v11, v11, v16
	s_delay_alu instid0(VALU_DEP_2) | instskip(NEXT) | instid1(VALU_DEP_1)
	v_fmaak_f32 v17, v13, v17, 0xbf000004
	v_fma_f32 v13, v13, v17, 1.0
	s_delay_alu instid0(VALU_DEP_1) | instskip(SKIP_1) | instid1(VALU_DEP_2)
	v_cndmask_b32_e64 v11, -v11, v13, vcc_lo
	v_cmp_class_f32_e64 vcc_lo, v10, 0x1f8
	v_bitop3_b32 v11, v12, v11, 0x80000000 bitop3:0x6c
	s_delay_alu instid0(VALU_DEP_1) | instskip(NEXT) | instid1(VALU_DEP_1)
	v_cndmask_b32_e32 v10, 0x7fc00000, v11, vcc_lo
	v_fma_f32 v8, v8, v10, -v9
	v_lshl_add_u64 v[10:11], v[0:1], 2, s[20:21]
	global_store_b32 v[10:11], v8, off
	s_wait_xcnt 0x0
	v_cmpx_nlt_f32_e32 v14, v15
	s_xor_b32 s2, exec_lo, s2
	s_cbranch_execz .LBB1_16
; %bb.15:
	global_load_b32 v14, v[6:7], off
                                        ; implicit-def: $vgpr15
.LBB1_16:
	s_wait_xcnt 0x0
	s_or_saveexec_b32 s2, s2
	s_load_b64 s[14:15], s[0:1], 0x70
	s_wait_kmcnt 0x0
	v_lshl_add_u64 v[12:13], v[0:1], 2, s[14:15]
	s_xor_b32 exec_lo, exec_lo, s2
	s_cbranch_execz .LBB1_18
; %bb.17:
	s_wait_loadcnt 0x0
	global_store_b32 v[12:13], v14, off
	global_store_b32 v[4:5], v15, off
	;; [unrolled: 1-line block ×3, first 2 shown]
.LBB1_18:
	s_wait_xcnt 0x0
	s_or_b32 exec_lo, exec_lo, s2
	v_mov_b32_e32 v9, v8
	s_mov_b32 s2, exec_lo
	s_wait_loadcnt 0x0
	v_cmpx_lt_f32_e32 v14, v8
	s_cbranch_execz .LBB1_20
; %bb.19:
	global_store_b32 v[12:13], v14, off
	global_store_b32 v[10:11], v14, off
	s_wait_xcnt 0x0
	v_dual_mov_b32 v9, v14 :: v_dual_mov_b32 v14, v8
	global_store_b32 v[6:7], v8, off
.LBB1_20:
	s_wait_xcnt 0x0
	s_or_b32 exec_lo, exec_lo, s2
	global_load_b32 v8, v[4:5], off
	s_mov_b32 s2, exec_lo
	s_wait_loadcnt 0x0
	v_cmpx_lt_f32_e32 v8, v14
	s_cbranch_execz .LBB1_22
; %bb.21:
	global_store_b32 v[12:13], v8, off
	global_store_b32 v[6:7], v8, off
	s_wait_xcnt 0x0
	v_mov_b32_e32 v8, v14
	global_store_b32 v[4:5], v14, off
.LBB1_22:
	s_wait_xcnt 0x0
	s_or_b32 exec_lo, exec_lo, s2
	v_add_nc_u64_e32 v[4:5], s[6:7], v[2:3]
	v_add_nc_u64_e32 v[6:7], s[4:5], v[2:3]
	v_mov_b32_e32 v12, v9
	global_load_b32 v11, v[4:5], off
	s_wait_xcnt 0x0
	v_add_nc_u64_e32 v[4:5], s[8:9], v[2:3]
	v_add_nc_u64_e32 v[2:3], s[10:11], v[2:3]
	global_load_b32 v5, v[4:5], off
	global_load_b32 v14, v[6:7], off
	;; [unrolled: 1-line block ×3, first 2 shown]
	s_wait_xcnt 0x0
	v_pk_mul_f32 v[2:3], v[8:9], v[8:9]
	s_delay_alu instid0(VALU_DEP_1) | instskip(NEXT) | instid1(VALU_DEP_1)
	v_pk_mul_f32 v[6:7], v[8:9], v[2:3]
	v_sub_f32_e32 v3, v6, v7
	v_pk_mul_f32 v[6:7], v[8:9], v[6:7]
	s_delay_alu instid0(VALU_DEP_1) | instskip(SKIP_1) | instid1(VALU_DEP_3)
	v_sub_f32_e32 v6, v6, v7
	s_wait_loadcnt 0x3
	v_mul_f32_e32 v15, v11, v3
	s_delay_alu instid0(VALU_DEP_1) | instskip(SKIP_3) | instid1(VALU_DEP_3)
	v_div_scale_f32 v11, null, 0x40400000, 0x40400000, v15
	v_div_scale_f32 v13, vcc_lo, v15, 0x40400000, v15
	s_wait_loadcnt 0x1
	v_mul_f32_e32 v6, v14, v6
	v_rcp_f32_e32 v16, v11
	v_nop
	s_delay_alu instid0(TRANS32_DEP_1) | instskip(NEXT) | instid1(VALU_DEP_1)
	v_fma_f32 v3, -v11, v16, 1.0
	v_dual_fmac_f32 v16, v3, v16 :: v_dual_mov_b32 v3, v2
	s_delay_alu instid0(VALU_DEP_1) | instskip(NEXT) | instid1(VALU_DEP_2)
	v_mul_f32_e32 v17, v13, v16
	v_pk_fma_f32 v[2:3], v[8:9], v[8:9], v[2:3] neg_lo:[1,0,0] neg_hi:[1,0,0]
	s_delay_alu instid0(VALU_DEP_2) | instskip(NEXT) | instid1(VALU_DEP_1)
	v_fma_f32 v4, -v11, v17, v13
	v_fmac_f32_e32 v17, v4, v16
	s_delay_alu instid0(VALU_DEP_1) | instskip(NEXT) | instid1(VALU_DEP_4)
	v_dual_mov_b32 v4, v8 :: v_dual_fma_f32 v7, -v11, v17, v13
	v_dual_mov_b32 v11, 0.5 :: v_dual_mov_b32 v13, v3
	s_delay_alu instid0(VALU_DEP_2) | instskip(NEXT) | instid1(VALU_DEP_3)
	v_pk_mul_f32 v[2:3], v[4:5], v[2:3]
	v_div_fmas_f32 v2, v7, v16, v17
	s_delay_alu instid0(VALU_DEP_3) | instskip(NEXT) | instid1(VALU_DEP_2)
	v_pk_add_f32 v[4:5], v[8:9], v[12:13] neg_lo:[0,1] neg_hi:[0,1]
	v_div_fixup_f32 v7, v2, 0x40400000, v15
	s_delay_alu instid0(VALU_DEP_4) | instskip(SKIP_1) | instid1(VALU_DEP_1)
	v_mov_b32_e32 v5, v3
	s_wait_loadcnt 0x0
	v_pk_mul_f32 v[2:3], v[4:5], v[10:11]
	s_delay_alu instid0(VALU_DEP_3) | instskip(NEXT) | instid1(VALU_DEP_1)
	v_fmamk_f32 v4, v6, 0x3e800000, v7
                                        ; implicit-def: $vgpr5
	v_add_f32_e32 v3, v3, v4
                                        ; implicit-def: $vgpr4
	s_delay_alu instid0(VALU_DEP_1) | instskip(NEXT) | instid1(VALU_DEP_1)
	v_add_f32_e32 v2, v2, v3
	v_cmp_nge_f32_e32 vcc_lo, 0, v2
                                        ; implicit-def: $vgpr2_vgpr3
	v_cndmask_b32_e32 v6, v8, v9, vcc_lo
.LBB1_23:
	s_or_saveexec_b32 s4, s22
	s_load_b64 s[2:3], s[0:1], 0x78
	s_xor_b32 exec_lo, exec_lo, s4
	s_cbranch_execz .LBB1_25
; %bb.24:
	v_add_nc_u64_e32 v[6:7], s[12:13], v[2:3]
	v_cmp_gt_f32_e32 vcc_lo, 0xf800000, v5
	s_mov_b32 s6, 0xbeaaaaab
	global_load_b32 v10, v[6:7], off
	s_wait_xcnt 0x0
	v_mul_f32_e32 v6, 0x4f800000, v5
	s_delay_alu instid0(VALU_DEP_1) | instskip(NEXT) | instid1(VALU_DEP_1)
	v_cndmask_b32_e32 v5, v5, v6, vcc_lo
	v_sqrt_f32_e32 v6, v5
	v_nop
	s_delay_alu instid0(TRANS32_DEP_1) | instskip(NEXT) | instid1(VALU_DEP_1)
	v_dual_add_nc_u32 v7, -1, v6 :: v_dual_add_nc_u32 v8, 1, v6
	v_fma_f32 v9, -v7, v6, v5
	s_delay_alu instid0(VALU_DEP_1) | instskip(NEXT) | instid1(VALU_DEP_1)
	v_cmp_ge_f32_e64 s0, 0, v9
	v_dual_fma_f32 v11, -v8, v6, v5 :: v_dual_cndmask_b32 v6, v6, v7, s0
	s_delay_alu instid0(VALU_DEP_1) | instskip(NEXT) | instid1(VALU_DEP_1)
	v_cmp_lt_f32_e64 s0, 0, v11
	v_cndmask_b32_e64 v6, v6, v8, s0
	s_delay_alu instid0(VALU_DEP_1) | instskip(NEXT) | instid1(VALU_DEP_1)
	v_mul_f32_e32 v7, 0x37800000, v6
	v_cndmask_b32_e32 v6, v6, v7, vcc_lo
	v_cmp_class_f32_e64 vcc_lo, v5, 0x260
	s_delay_alu instid0(VALU_DEP_2) | instskip(SKIP_1) | instid1(VALU_DEP_1)
	v_cndmask_b32_e32 v5, v6, v5, vcc_lo
	s_wait_loadcnt 0x1
	v_dual_add_f32 v11, v5, v4 :: v_dual_sub_f32 v12, v4, v5
	s_delay_alu instid0(VALU_DEP_1) | instskip(NEXT) | instid1(VALU_DEP_2)
	v_ldexp_f32 v4, |v11|, 24
	v_ldexp_f32 v5, |v12|, 24
	v_cmp_gt_f32_e64 vcc_lo, 0x800000, |v11|
	v_cmp_gt_f32_e64 s0, 0x800000, |v12|
	s_delay_alu instid0(VALU_DEP_2) | instskip(NEXT) | instid1(VALU_DEP_2)
	v_cndmask_b32_e64 v4, |v11|, v4, vcc_lo
	v_cndmask_b32_e64 v5, |v12|, v5, s0
	s_delay_alu instid0(VALU_DEP_2) | instskip(NEXT) | instid1(VALU_DEP_1)
	v_log_f32_e32 v6, v4
	v_log_f32_e32 v7, v5
	v_nop
	s_delay_alu instid0(TRANS32_DEP_1) | instskip(NEXT) | instid1(VALU_DEP_1)
	v_dual_mul_f32 v6, 0x3eaaaaab, v6 :: v_dual_mul_f32 v7, 0x3eaaaaab, v7
	v_exp_f32_e32 v6, v6
	s_delay_alu instid0(VALU_DEP_1) | instskip(NEXT) | instid1(TRANS32_DEP_2)
	v_exp_f32_e32 v7, v7
	v_mul_f32_e32 v8, v6, v6
	s_delay_alu instid0(VALU_DEP_1) | instskip(SKIP_2) | instid1(VALU_DEP_1)
	v_rcp_f32_e32 v8, v8
	s_wait_loadcnt 0x0
	v_div_scale_f32 v13, null, 0xc0400000, 0xc0400000, v10
	v_rcp_f32_e32 v14, v13
	s_delay_alu instid0(TRANS32_DEP_3) | instskip(NEXT) | instid1(VALU_DEP_1)
	v_mul_f32_e32 v9, v7, v7
	v_rcp_f32_e32 v9, v9
	v_nop
	s_delay_alu instid0(TRANS32_DEP_1) | instskip(NEXT) | instid1(TRANS32_DEP_2)
	v_pk_fma_f32 v[4:5], v[8:9], v[4:5], v[6:7] neg_lo:[0,1,0] neg_hi:[0,1,0]
	v_fma_f32 v8, -v13, v14, 1.0
	s_delay_alu instid0(VALU_DEP_2) | instskip(SKIP_1) | instid1(VALU_DEP_3)
	v_pk_fma_f32 v[4:5], v[4:5], s[6:7], v[6:7] op_sel_hi:[1,0,1]
	v_div_scale_f32 v6, s1, v10, 0xc0400000, v10
	v_fmac_f32_e32 v14, v8, v14
	s_delay_alu instid0(VALU_DEP_3) | instskip(NEXT) | instid1(VALU_DEP_4)
	v_ldexp_f32 v7, v5, -8
	v_ldexp_f32 v9, v4, -8
	s_delay_alu instid0(VALU_DEP_2) | instskip(NEXT) | instid1(VALU_DEP_2)
	v_dual_mul_f32 v8, v6, v14 :: v_dual_cndmask_b32 v5, v5, v7, s0
	v_cndmask_b32_e32 v4, v4, v9, vcc_lo
	v_cmp_class_f32_e64 vcc_lo, v12, 0x198
	s_delay_alu instid0(VALU_DEP_3) | instskip(NEXT) | instid1(VALU_DEP_4)
	v_fma_f32 v7, -v13, v8, v6
	v_bfi_b32 v5, 0x7fffffff, v5, v12
	s_delay_alu instid0(VALU_DEP_4) | instskip(NEXT) | instid1(VALU_DEP_2)
	v_bfi_b32 v4, 0x7fffffff, v4, v11
	v_dual_fmac_f32 v8, v7, v14 :: v_dual_cndmask_b32 v5, v12, v5
	v_cmp_class_f32_e64 vcc_lo, v11, 0x198
	s_delay_alu instid0(VALU_DEP_3) | instskip(NEXT) | instid1(VALU_DEP_3)
	v_cndmask_b32_e32 v4, v11, v4, vcc_lo
	v_fma_f32 v6, -v13, v8, v6
	s_mov_b32 vcc_lo, s1
	s_delay_alu instid0(VALU_DEP_2) | instskip(NEXT) | instid1(VALU_DEP_2)
	v_add_f32_e32 v7, v4, v5
	v_div_fmas_f32 v6, v6, v14, v8
	s_wait_kmcnt 0x0
	v_add_nc_u64_e32 v[8:9], s[18:19], v[2:3]
	v_add_nc_u64_e32 v[4:5], s[16:17], v[2:3]
	;; [unrolled: 1-line block ×3, first 2 shown]
	v_div_fixup_f32 v6, v6, 0xc0400000, v10
	s_delay_alu instid0(VALU_DEP_1)
	v_dual_mov_b32 v10, 0 :: v_dual_add_f32 v6, v7, v6
	global_store_b32 v[8:9], v10, off
	global_store_b32 v[4:5], v6, off
	;; [unrolled: 1-line block ×3, first 2 shown]
.LBB1_25:
	s_wait_xcnt 0x0
	s_or_b32 exec_lo, exec_lo, s4
	s_wait_kmcnt 0x0
	v_lshl_add_u64 v[0:1], v[0:1], 2, s[2:3]
	global_store_b32 v[0:1], v6, off
.LBB1_26:
	s_endpgm
	.section	.rodata,"a",@progbits
	.p2align	6, 0x0
	.amdhsa_kernel _Z13QuarticSolveriPKfS0_S0_S0_S0_S0_S0_S0_PfS1_S1_S1_S1_S1_S1_
		.amdhsa_group_segment_fixed_size 0
		.amdhsa_private_segment_fixed_size 0
		.amdhsa_kernarg_size 384
		.amdhsa_user_sgpr_count 2
		.amdhsa_user_sgpr_dispatch_ptr 0
		.amdhsa_user_sgpr_queue_ptr 0
		.amdhsa_user_sgpr_kernarg_segment_ptr 1
		.amdhsa_user_sgpr_dispatch_id 0
		.amdhsa_user_sgpr_kernarg_preload_length 0
		.amdhsa_user_sgpr_kernarg_preload_offset 0
		.amdhsa_user_sgpr_private_segment_size 0
		.amdhsa_wavefront_size32 1
		.amdhsa_uses_dynamic_stack 0
		.amdhsa_enable_private_segment 0
		.amdhsa_system_sgpr_workgroup_id_x 1
		.amdhsa_system_sgpr_workgroup_id_y 0
		.amdhsa_system_sgpr_workgroup_id_z 0
		.amdhsa_system_sgpr_workgroup_info 0
		.amdhsa_system_vgpr_workitem_id 0
		.amdhsa_next_free_vgpr 30
		.amdhsa_next_free_sgpr 28
		.amdhsa_named_barrier_count 0
		.amdhsa_reserve_vcc 1
		.amdhsa_float_round_mode_32 0
		.amdhsa_float_round_mode_16_64 0
		.amdhsa_float_denorm_mode_32 3
		.amdhsa_float_denorm_mode_16_64 3
		.amdhsa_fp16_overflow 0
		.amdhsa_memory_ordered 1
		.amdhsa_forward_progress 1
		.amdhsa_inst_pref_size 44
		.amdhsa_round_robin_scheduling 0
		.amdhsa_exception_fp_ieee_invalid_op 0
		.amdhsa_exception_fp_denorm_src 0
		.amdhsa_exception_fp_ieee_div_zero 0
		.amdhsa_exception_fp_ieee_overflow 0
		.amdhsa_exception_fp_ieee_underflow 0
		.amdhsa_exception_fp_ieee_inexact 0
		.amdhsa_exception_int_div_zero 0
	.end_amdhsa_kernel
	.text
.Lfunc_end1:
	.size	_Z13QuarticSolveriPKfS0_S0_S0_S0_S0_S0_S0_PfS1_S1_S1_S1_S1_S1_, .Lfunc_end1-_Z13QuarticSolveriPKfS0_S0_S0_S0_S0_S0_S0_PfS1_S1_S1_S1_S1_S1_
                                        ; -- End function
	.set _Z13QuarticSolveriPKfS0_S0_S0_S0_S0_S0_S0_PfS1_S1_S1_S1_S1_S1_.num_vgpr, 30
	.set _Z13QuarticSolveriPKfS0_S0_S0_S0_S0_S0_S0_PfS1_S1_S1_S1_S1_S1_.num_agpr, 0
	.set _Z13QuarticSolveriPKfS0_S0_S0_S0_S0_S0_S0_PfS1_S1_S1_S1_S1_S1_.numbered_sgpr, 28
	.set _Z13QuarticSolveriPKfS0_S0_S0_S0_S0_S0_S0_PfS1_S1_S1_S1_S1_S1_.num_named_barrier, 0
	.set _Z13QuarticSolveriPKfS0_S0_S0_S0_S0_S0_S0_PfS1_S1_S1_S1_S1_S1_.private_seg_size, 0
	.set _Z13QuarticSolveriPKfS0_S0_S0_S0_S0_S0_S0_PfS1_S1_S1_S1_S1_S1_.uses_vcc, 1
	.set _Z13QuarticSolveriPKfS0_S0_S0_S0_S0_S0_S0_PfS1_S1_S1_S1_S1_S1_.uses_flat_scratch, 0
	.set _Z13QuarticSolveriPKfS0_S0_S0_S0_S0_S0_S0_PfS1_S1_S1_S1_S1_S1_.has_dyn_sized_stack, 0
	.set _Z13QuarticSolveriPKfS0_S0_S0_S0_S0_S0_S0_PfS1_S1_S1_S1_S1_S1_.has_recursion, 0
	.set _Z13QuarticSolveriPKfS0_S0_S0_S0_S0_S0_S0_PfS1_S1_S1_S1_S1_S1_.has_indirect_call, 0
	.section	.AMDGPU.csdata,"",@progbits
; Kernel info:
; codeLenInByte = 5564
; TotalNumSgprs: 30
; NumVgprs: 30
; ScratchSize: 0
; MemoryBound: 0
; FloatMode: 240
; IeeeMode: 1
; LDSByteSize: 0 bytes/workgroup (compile time only)
; SGPRBlocks: 0
; VGPRBlocks: 1
; NumSGPRsForWavesPerEU: 30
; NumVGPRsForWavesPerEU: 30
; NamedBarCnt: 0
; Occupancy: 16
; WaveLimiterHint : 0
; COMPUTE_PGM_RSRC2:SCRATCH_EN: 0
; COMPUTE_PGM_RSRC2:USER_SGPR: 2
; COMPUTE_PGM_RSRC2:TRAP_HANDLER: 0
; COMPUTE_PGM_RSRC2:TGID_X_EN: 1
; COMPUTE_PGM_RSRC2:TGID_Y_EN: 0
; COMPUTE_PGM_RSRC2:TGID_Z_EN: 0
; COMPUTE_PGM_RSRC2:TIDIG_COMP_CNT: 0
	.text
	.p2alignl 7, 3214868480
	.fill 96, 4, 3214868480
	.section	.AMDGPU.gpr_maximums,"",@progbits
	.set amdgpu.max_num_vgpr, 0
	.set amdgpu.max_num_agpr, 0
	.set amdgpu.max_num_sgpr, 0
	.text
	.type	__hip_cuid_a3866692570dc1a2,@object ; @__hip_cuid_a3866692570dc1a2
	.section	.bss,"aw",@nobits
	.globl	__hip_cuid_a3866692570dc1a2
__hip_cuid_a3866692570dc1a2:
	.byte	0                               ; 0x0
	.size	__hip_cuid_a3866692570dc1a2, 1

	.ident	"AMD clang version 22.0.0git (https://github.com/RadeonOpenCompute/llvm-project roc-7.2.4 26084 f58b06dce1f9c15707c5f808fd002e18c2accf7e)"
	.section	".note.GNU-stack","",@progbits
	.addrsig
	.addrsig_sym __hip_cuid_a3866692570dc1a2
	.amdgpu_metadata
---
amdhsa.kernels:
  - .args:
      - .offset:         0
        .size:           4
        .value_kind:     by_value
      - .address_space:  global
        .offset:         8
        .size:           8
        .value_kind:     global_buffer
      - .address_space:  global
        .offset:         16
        .size:           8
        .value_kind:     global_buffer
      - .address_space:  global
        .offset:         24
        .size:           8
        .value_kind:     global_buffer
      - .address_space:  global
        .offset:         32
        .size:           8
        .value_kind:     global_buffer
      - .actual_access:  write_only
        .address_space:  global
        .offset:         40
        .size:           8
        .value_kind:     global_buffer
      - .actual_access:  write_only
        .address_space:  global
        .offset:         48
        .size:           8
        .value_kind:     global_buffer
      - .actual_access:  write_only
        .address_space:  global
        .offset:         56
        .size:           8
        .value_kind:     global_buffer
      - .actual_access:  write_only
        .address_space:  global
        .offset:         64
        .size:           8
        .value_kind:     global_buffer
      - .actual_access:  write_only
        .address_space:  global
        .offset:         72
        .size:           8
        .value_kind:     global_buffer
      - .actual_access:  write_only
        .address_space:  global
        .offset:         80
        .size:           8
        .value_kind:     global_buffer
      - .actual_access:  write_only
        .address_space:  global
        .offset:         88
        .size:           8
        .value_kind:     global_buffer
      - .actual_access:  write_only
        .address_space:  global
        .offset:         96
        .size:           8
        .value_kind:     global_buffer
      - .offset:         104
        .size:           4
        .value_kind:     hidden_block_count_x
      - .offset:         108
        .size:           4
        .value_kind:     hidden_block_count_y
      - .offset:         112
        .size:           4
        .value_kind:     hidden_block_count_z
      - .offset:         116
        .size:           2
        .value_kind:     hidden_group_size_x
      - .offset:         118
        .size:           2
        .value_kind:     hidden_group_size_y
      - .offset:         120
        .size:           2
        .value_kind:     hidden_group_size_z
      - .offset:         122
        .size:           2
        .value_kind:     hidden_remainder_x
      - .offset:         124
        .size:           2
        .value_kind:     hidden_remainder_y
      - .offset:         126
        .size:           2
        .value_kind:     hidden_remainder_z
      - .offset:         144
        .size:           8
        .value_kind:     hidden_global_offset_x
      - .offset:         152
        .size:           8
        .value_kind:     hidden_global_offset_y
      - .offset:         160
        .size:           8
        .value_kind:     hidden_global_offset_z
      - .offset:         168
        .size:           2
        .value_kind:     hidden_grid_dims
    .group_segment_fixed_size: 0
    .kernarg_segment_align: 8
    .kernarg_segment_size: 360
    .language:       OpenCL C
    .language_version:
      - 2
      - 0
    .max_flat_workgroup_size: 1024
    .name:           _Z5QRdeliPKfS0_S0_S0_PfS1_S1_S1_S1_S1_S1_S1_
    .private_segment_fixed_size: 0
    .sgpr_count:     22
    .sgpr_spill_count: 0
    .symbol:         _Z5QRdeliPKfS0_S0_S0_PfS1_S1_S1_S1_S1_S1_S1_.kd
    .uniform_work_group_size: 1
    .uses_dynamic_stack: false
    .vgpr_count:     30
    .vgpr_spill_count: 0
    .wavefront_size: 32
  - .args:
      - .offset:         0
        .size:           4
        .value_kind:     by_value
      - .address_space:  global
        .offset:         8
        .size:           8
        .value_kind:     global_buffer
      - .address_space:  global
        .offset:         16
        .size:           8
        .value_kind:     global_buffer
      - .address_space:  global
        .offset:         24
        .size:           8
        .value_kind:     global_buffer
      - .address_space:  global
        .offset:         32
        .size:           8
        .value_kind:     global_buffer
      - .address_space:  global
        .offset:         40
        .size:           8
        .value_kind:     global_buffer
      - .address_space:  global
        .offset:         48
        .size:           8
        .value_kind:     global_buffer
      - .address_space:  global
        .offset:         56
        .size:           8
        .value_kind:     global_buffer
      - .address_space:  global
        .offset:         64
        .size:           8
        .value_kind:     global_buffer
      - .actual_access:  write_only
        .address_space:  global
        .offset:         72
        .size:           8
        .value_kind:     global_buffer
      - .actual_access:  write_only
        .address_space:  global
        .offset:         80
        .size:           8
        .value_kind:     global_buffer
      - .address_space:  global
        .offset:         88
        .size:           8
        .value_kind:     global_buffer
      - .address_space:  global
        .offset:         96
        .size:           8
        .value_kind:     global_buffer
      - .actual_access:  write_only
        .address_space:  global
        .offset:         104
        .size:           8
        .value_kind:     global_buffer
      - .actual_access:  write_only
        .address_space:  global
        .offset:         112
        .size:           8
        .value_kind:     global_buffer
      - .actual_access:  write_only
        .address_space:  global
        .offset:         120
        .size:           8
        .value_kind:     global_buffer
      - .offset:         128
        .size:           4
        .value_kind:     hidden_block_count_x
      - .offset:         132
        .size:           4
        .value_kind:     hidden_block_count_y
      - .offset:         136
        .size:           4
        .value_kind:     hidden_block_count_z
      - .offset:         140
        .size:           2
        .value_kind:     hidden_group_size_x
      - .offset:         142
        .size:           2
        .value_kind:     hidden_group_size_y
      - .offset:         144
        .size:           2
        .value_kind:     hidden_group_size_z
      - .offset:         146
        .size:           2
        .value_kind:     hidden_remainder_x
      - .offset:         148
        .size:           2
        .value_kind:     hidden_remainder_y
      - .offset:         150
        .size:           2
        .value_kind:     hidden_remainder_z
      - .offset:         168
        .size:           8
        .value_kind:     hidden_global_offset_x
      - .offset:         176
        .size:           8
        .value_kind:     hidden_global_offset_y
      - .offset:         184
        .size:           8
        .value_kind:     hidden_global_offset_z
      - .offset:         192
        .size:           2
        .value_kind:     hidden_grid_dims
    .group_segment_fixed_size: 0
    .kernarg_segment_align: 8
    .kernarg_segment_size: 384
    .language:       OpenCL C
    .language_version:
      - 2
      - 0
    .max_flat_workgroup_size: 1024
    .name:           _Z13QuarticSolveriPKfS0_S0_S0_S0_S0_S0_S0_PfS1_S1_S1_S1_S1_S1_
    .private_segment_fixed_size: 0
    .sgpr_count:     30
    .sgpr_spill_count: 0
    .symbol:         _Z13QuarticSolveriPKfS0_S0_S0_S0_S0_S0_S0_PfS1_S1_S1_S1_S1_S1_.kd
    .uniform_work_group_size: 1
    .uses_dynamic_stack: false
    .vgpr_count:     30
    .vgpr_spill_count: 0
    .wavefront_size: 32
amdhsa.target:   amdgcn-amd-amdhsa--gfx1250
amdhsa.version:
  - 1
  - 2
...

	.end_amdgpu_metadata
